;; amdgpu-corpus repo=ROCm/rocFFT kind=compiled arch=gfx1030 opt=O3
	.text
	.amdgcn_target "amdgcn-amd-amdhsa--gfx1030"
	.amdhsa_code_object_version 6
	.protected	fft_rtc_back_len192_factors_6_4_4_2_wgs_128_tpt_16_halfLds_half_op_CI_CI_unitstride_sbrr_C2R_dirReg ; -- Begin function fft_rtc_back_len192_factors_6_4_4_2_wgs_128_tpt_16_halfLds_half_op_CI_CI_unitstride_sbrr_C2R_dirReg
	.globl	fft_rtc_back_len192_factors_6_4_4_2_wgs_128_tpt_16_halfLds_half_op_CI_CI_unitstride_sbrr_C2R_dirReg
	.p2align	8
	.type	fft_rtc_back_len192_factors_6_4_4_2_wgs_128_tpt_16_halfLds_half_op_CI_CI_unitstride_sbrr_C2R_dirReg,@function
fft_rtc_back_len192_factors_6_4_4_2_wgs_128_tpt_16_halfLds_half_op_CI_CI_unitstride_sbrr_C2R_dirReg: ; @fft_rtc_back_len192_factors_6_4_4_2_wgs_128_tpt_16_halfLds_half_op_CI_CI_unitstride_sbrr_C2R_dirReg
; %bb.0:
	s_clause 0x2
	s_load_dwordx4 s[12:15], s[4:5], 0x0
	s_load_dwordx4 s[8:11], s[4:5], 0x58
	;; [unrolled: 1-line block ×3, first 2 shown]
	v_lshrrev_b32_e32 v7, 4, v0
	v_mov_b32_e32 v3, 0
	v_mov_b32_e32 v8, 0
	;; [unrolled: 1-line block ×3, first 2 shown]
	v_lshl_or_b32 v10, s6, 3, v7
	v_mov_b32_e32 v11, v3
	s_waitcnt lgkmcnt(0)
	v_cmp_lt_u64_e64 s0, s[14:15], 2
	s_and_b32 vcc_lo, exec_lo, s0
	s_cbranch_vccnz .LBB0_8
; %bb.1:
	s_load_dwordx2 s[0:1], s[4:5], 0x10
	v_mov_b32_e32 v8, 0
	v_mov_b32_e32 v9, 0
	s_add_u32 s2, s18, 8
	s_addc_u32 s3, s19, 0
	v_mov_b32_e32 v1, v8
	s_add_u32 s6, s16, 8
	v_mov_b32_e32 v2, v9
	s_addc_u32 s7, s17, 0
	s_mov_b64 s[22:23], 1
	s_waitcnt lgkmcnt(0)
	s_add_u32 s20, s0, 8
	s_addc_u32 s21, s1, 0
.LBB0_2:                                ; =>This Inner Loop Header: Depth=1
	s_load_dwordx2 s[24:25], s[20:21], 0x0
                                        ; implicit-def: $vgpr5_vgpr6
	s_mov_b32 s0, exec_lo
	s_waitcnt lgkmcnt(0)
	v_or_b32_e32 v4, s25, v11
	v_cmpx_ne_u64_e32 0, v[3:4]
	s_xor_b32 s1, exec_lo, s0
	s_cbranch_execz .LBB0_4
; %bb.3:                                ;   in Loop: Header=BB0_2 Depth=1
	v_cvt_f32_u32_e32 v4, s24
	v_cvt_f32_u32_e32 v5, s25
	s_sub_u32 s0, 0, s24
	s_subb_u32 s26, 0, s25
	v_fmac_f32_e32 v4, 0x4f800000, v5
	v_rcp_f32_e32 v4, v4
	v_mul_f32_e32 v4, 0x5f7ffffc, v4
	v_mul_f32_e32 v5, 0x2f800000, v4
	v_trunc_f32_e32 v5, v5
	v_fmac_f32_e32 v4, 0xcf800000, v5
	v_cvt_u32_f32_e32 v5, v5
	v_cvt_u32_f32_e32 v4, v4
	v_mul_lo_u32 v6, s0, v5
	v_mul_hi_u32 v12, s0, v4
	v_mul_lo_u32 v13, s26, v4
	v_add_nc_u32_e32 v6, v12, v6
	v_mul_lo_u32 v12, s0, v4
	v_add_nc_u32_e32 v6, v6, v13
	v_mul_hi_u32 v13, v4, v12
	v_mul_lo_u32 v14, v4, v6
	v_mul_hi_u32 v15, v4, v6
	v_mul_hi_u32 v16, v5, v12
	v_mul_lo_u32 v12, v5, v12
	v_mul_hi_u32 v17, v5, v6
	v_mul_lo_u32 v6, v5, v6
	v_add_co_u32 v13, vcc_lo, v13, v14
	v_add_co_ci_u32_e32 v14, vcc_lo, 0, v15, vcc_lo
	v_add_co_u32 v12, vcc_lo, v13, v12
	v_add_co_ci_u32_e32 v12, vcc_lo, v14, v16, vcc_lo
	v_add_co_ci_u32_e32 v13, vcc_lo, 0, v17, vcc_lo
	v_add_co_u32 v6, vcc_lo, v12, v6
	v_add_co_ci_u32_e32 v12, vcc_lo, 0, v13, vcc_lo
	v_add_co_u32 v4, vcc_lo, v4, v6
	v_add_co_ci_u32_e32 v5, vcc_lo, v5, v12, vcc_lo
	v_mul_hi_u32 v6, s0, v4
	v_mul_lo_u32 v13, s26, v4
	v_mul_lo_u32 v12, s0, v5
	v_add_nc_u32_e32 v6, v6, v12
	v_mul_lo_u32 v12, s0, v4
	v_add_nc_u32_e32 v6, v6, v13
	v_mul_hi_u32 v13, v4, v12
	v_mul_lo_u32 v14, v4, v6
	v_mul_hi_u32 v15, v4, v6
	v_mul_hi_u32 v16, v5, v12
	v_mul_lo_u32 v12, v5, v12
	v_mul_hi_u32 v17, v5, v6
	v_mul_lo_u32 v6, v5, v6
	v_add_co_u32 v13, vcc_lo, v13, v14
	v_add_co_ci_u32_e32 v14, vcc_lo, 0, v15, vcc_lo
	v_add_co_u32 v12, vcc_lo, v13, v12
	v_add_co_ci_u32_e32 v12, vcc_lo, v14, v16, vcc_lo
	v_add_co_ci_u32_e32 v13, vcc_lo, 0, v17, vcc_lo
	v_add_co_u32 v6, vcc_lo, v12, v6
	v_add_co_ci_u32_e32 v12, vcc_lo, 0, v13, vcc_lo
	v_add_co_u32 v6, vcc_lo, v4, v6
	v_add_co_ci_u32_e32 v14, vcc_lo, v5, v12, vcc_lo
	v_mul_hi_u32 v16, v10, v6
	v_mad_u64_u32 v[12:13], null, v11, v6, 0
	v_mad_u64_u32 v[4:5], null, v10, v14, 0
	;; [unrolled: 1-line block ×3, first 2 shown]
	v_add_co_u32 v4, vcc_lo, v16, v4
	v_add_co_ci_u32_e32 v5, vcc_lo, 0, v5, vcc_lo
	v_add_co_u32 v4, vcc_lo, v4, v12
	v_add_co_ci_u32_e32 v4, vcc_lo, v5, v13, vcc_lo
	v_add_co_ci_u32_e32 v5, vcc_lo, 0, v15, vcc_lo
	v_add_co_u32 v12, vcc_lo, v4, v14
	v_add_co_ci_u32_e32 v6, vcc_lo, 0, v5, vcc_lo
	v_mul_lo_u32 v13, s25, v12
	v_mad_u64_u32 v[4:5], null, s24, v12, 0
	v_mul_lo_u32 v14, s24, v6
	v_sub_co_u32 v4, vcc_lo, v10, v4
	v_add3_u32 v5, v5, v14, v13
	v_sub_nc_u32_e32 v13, v11, v5
	v_subrev_co_ci_u32_e64 v13, s0, s25, v13, vcc_lo
	v_add_co_u32 v14, s0, v12, 2
	v_add_co_ci_u32_e64 v15, s0, 0, v6, s0
	v_sub_co_u32 v16, s0, v4, s24
	v_sub_co_ci_u32_e32 v5, vcc_lo, v11, v5, vcc_lo
	v_subrev_co_ci_u32_e64 v13, s0, 0, v13, s0
	v_cmp_le_u32_e32 vcc_lo, s24, v16
	v_cmp_eq_u32_e64 s0, s25, v5
	v_cndmask_b32_e64 v16, 0, -1, vcc_lo
	v_cmp_le_u32_e32 vcc_lo, s25, v13
	v_cndmask_b32_e64 v17, 0, -1, vcc_lo
	v_cmp_le_u32_e32 vcc_lo, s24, v4
	;; [unrolled: 2-line block ×3, first 2 shown]
	v_cndmask_b32_e64 v18, 0, -1, vcc_lo
	v_cmp_eq_u32_e32 vcc_lo, s25, v13
	v_cndmask_b32_e64 v4, v18, v4, s0
	v_cndmask_b32_e32 v13, v17, v16, vcc_lo
	v_add_co_u32 v16, vcc_lo, v12, 1
	v_add_co_ci_u32_e32 v17, vcc_lo, 0, v6, vcc_lo
	v_cmp_ne_u32_e32 vcc_lo, 0, v13
	v_cndmask_b32_e32 v5, v17, v15, vcc_lo
	v_cndmask_b32_e32 v13, v16, v14, vcc_lo
	v_cmp_ne_u32_e32 vcc_lo, 0, v4
	v_cndmask_b32_e32 v6, v6, v5, vcc_lo
	v_cndmask_b32_e32 v5, v12, v13, vcc_lo
.LBB0_4:                                ;   in Loop: Header=BB0_2 Depth=1
	s_andn2_saveexec_b32 s0, s1
	s_cbranch_execz .LBB0_6
; %bb.5:                                ;   in Loop: Header=BB0_2 Depth=1
	v_cvt_f32_u32_e32 v4, s24
	s_sub_i32 s1, 0, s24
	v_rcp_iflag_f32_e32 v4, v4
	v_mul_f32_e32 v4, 0x4f7ffffe, v4
	v_cvt_u32_f32_e32 v4, v4
	v_mul_lo_u32 v5, s1, v4
	v_mul_hi_u32 v5, v4, v5
	v_add_nc_u32_e32 v4, v4, v5
	v_mul_hi_u32 v4, v10, v4
	v_mul_lo_u32 v5, v4, s24
	v_add_nc_u32_e32 v6, 1, v4
	v_sub_nc_u32_e32 v5, v10, v5
	v_subrev_nc_u32_e32 v12, s24, v5
	v_cmp_le_u32_e32 vcc_lo, s24, v5
	v_cndmask_b32_e32 v5, v5, v12, vcc_lo
	v_cndmask_b32_e32 v4, v4, v6, vcc_lo
	v_cmp_le_u32_e32 vcc_lo, s24, v5
	v_add_nc_u32_e32 v6, 1, v4
	v_cndmask_b32_e32 v5, v4, v6, vcc_lo
	v_mov_b32_e32 v6, v3
.LBB0_6:                                ;   in Loop: Header=BB0_2 Depth=1
	s_or_b32 exec_lo, exec_lo, s0
	v_mul_lo_u32 v4, v6, s24
	v_mul_lo_u32 v14, v5, s25
	s_load_dwordx2 s[0:1], s[6:7], 0x0
	v_mad_u64_u32 v[12:13], null, v5, s24, 0
	s_load_dwordx2 s[24:25], s[2:3], 0x0
	s_add_u32 s22, s22, 1
	s_addc_u32 s23, s23, 0
	s_add_u32 s2, s2, 8
	s_addc_u32 s3, s3, 0
	s_add_u32 s6, s6, 8
	v_add3_u32 v4, v13, v14, v4
	v_sub_co_u32 v10, vcc_lo, v10, v12
	s_addc_u32 s7, s7, 0
	s_add_u32 s20, s20, 8
	v_sub_co_ci_u32_e32 v4, vcc_lo, v11, v4, vcc_lo
	s_addc_u32 s21, s21, 0
	s_waitcnt lgkmcnt(0)
	v_mul_lo_u32 v11, s0, v4
	v_mul_lo_u32 v12, s1, v10
	v_mad_u64_u32 v[8:9], null, s0, v10, v[8:9]
	v_mul_lo_u32 v4, s24, v4
	v_mul_lo_u32 v13, s25, v10
	v_mad_u64_u32 v[1:2], null, s24, v10, v[1:2]
	v_cmp_ge_u64_e64 s0, s[22:23], s[14:15]
	v_add3_u32 v9, v12, v9, v11
	v_add3_u32 v2, v13, v2, v4
	s_and_b32 vcc_lo, exec_lo, s0
	s_cbranch_vccnz .LBB0_9
; %bb.7:                                ;   in Loop: Header=BB0_2 Depth=1
	v_mov_b32_e32 v11, v6
	v_mov_b32_e32 v10, v5
	s_branch .LBB0_2
.LBB0_8:
	v_mov_b32_e32 v1, v8
	v_mov_b32_e32 v5, v10
	;; [unrolled: 1-line block ×4, first 2 shown]
.LBB0_9:
	s_load_dwordx2 s[0:1], s[4:5], 0x28
	s_lshl_b64 s[4:5], s[14:15], 3
	v_and_b32_e32 v3, 15, v0
	s_add_u32 s2, s18, s4
	s_addc_u32 s3, s19, s5
                                        ; implicit-def: $vgpr10_vgpr11
	s_waitcnt lgkmcnt(0)
	v_cmp_gt_u64_e32 vcc_lo, s[0:1], v[5:6]
	v_cmp_le_u64_e64 s0, s[0:1], v[5:6]
	s_and_saveexec_b32 s1, s0
	s_xor_b32 s0, exec_lo, s1
; %bb.10:
	v_mov_b32_e32 v4, 0
	v_and_b32_e32 v3, 15, v0
                                        ; implicit-def: $vgpr8_vgpr9
	v_mov_b32_e32 v11, v4
	v_mov_b32_e32 v10, v3
; %bb.11:
	s_or_saveexec_b32 s1, s0
	s_load_dwordx2 s[2:3], s[2:3], 0x0
	v_mul_u32_u24_e32 v0, 0xc1, v7
                                        ; implicit-def: $vgpr7
	v_lshlrev_b32_e32 v13, 2, v0
	s_xor_b32 exec_lo, exec_lo, s1
	s_cbranch_execz .LBB0_15
; %bb.12:
	s_add_u32 s4, s16, s4
	s_addc_u32 s5, s17, s5
	s_load_dwordx2 s[4:5], s[4:5], 0x0
	s_waitcnt lgkmcnt(0)
	v_mul_lo_u32 v4, s5, v5
	v_mul_lo_u32 v7, s4, v6
	v_mad_u64_u32 v[10:11], null, s4, v5, 0
	s_mov_b32 s4, exec_lo
	v_add3_u32 v11, v11, v7, v4
	v_lshlrev_b64 v[7:8], 2, v[8:9]
	v_lshlrev_b64 v[10:11], 2, v[10:11]
	v_add_co_u32 v4, s0, s8, v10
	v_add_co_ci_u32_e64 v9, s0, s9, v11, s0
	v_lshlrev_b32_e32 v11, 2, v3
	v_add_co_u32 v7, s0, v4, v7
	v_add_co_ci_u32_e64 v8, s0, v9, v8, s0
	v_mov_b32_e32 v4, 0
	v_add_co_u32 v9, s0, v7, v11
	v_add_co_ci_u32_e64 v10, s0, 0, v8, s0
	s_clause 0xb
	global_load_dword v12, v[9:10], off
	global_load_dword v14, v[9:10], off offset:64
	global_load_dword v15, v[9:10], off offset:128
	;; [unrolled: 1-line block ×11, first 2 shown]
	v_add3_u32 v9, 0, v13, v11
	v_mov_b32_e32 v11, v4
	v_mov_b32_e32 v10, v3
	s_waitcnt vmcnt(10)
	ds_write2_b32 v9, v12, v14 offset1:16
	s_waitcnt vmcnt(8)
	ds_write2_b32 v9, v15, v16 offset0:32 offset1:48
	s_waitcnt vmcnt(6)
	ds_write2_b32 v9, v17, v18 offset0:64 offset1:80
	;; [unrolled: 2-line block ×5, first 2 shown]
	v_cmpx_eq_u32_e32 15, v3
	s_cbranch_execz .LBB0_14
; %bb.13:
	global_load_dword v4, v[7:8], off offset:768
	v_mov_b32_e32 v10, 15
	v_mov_b32_e32 v11, 0
	;; [unrolled: 1-line block ×3, first 2 shown]
	s_waitcnt vmcnt(0)
	ds_write_b32 v9, v4 offset:708
.LBB0_14:
	s_or_b32 exec_lo, exec_lo, s4
	v_mov_b32_e32 v7, v3
.LBB0_15:
	s_or_b32 exec_lo, exec_lo, s1
	v_lshl_add_u32 v0, v0, 2, 0
	v_lshlrev_b32_e32 v14, 2, v3
	s_waitcnt lgkmcnt(0)
	s_barrier
	buffer_gl0_inv
	v_lshlrev_b64 v[8:9], 2, v[10:11]
	v_add_nc_u32_e32 v12, v0, v14
	v_sub_nc_u32_e32 v16, v0, v14
	s_mov_b32 s1, exec_lo
	ds_read_u16 v4, v12
	ds_read_u16 v18, v16 offset:768
	s_waitcnt lgkmcnt(0)
	v_add_f16_e32 v15, v18, v4
	v_sub_f16_e32 v17, v4, v18
	v_cmpx_ne_u32_e32 0, v3
	s_xor_b32 s1, exec_lo, s1
	s_cbranch_execz .LBB0_17
; %bb.16:
	v_add_co_u32 v10, s0, s12, v8
	v_add_co_ci_u32_e64 v11, s0, s13, v9, s0
	v_add_f16_e32 v17, v18, v4
	v_sub_f16_e32 v4, v4, v18
	global_load_dword v10, v[10:11], off offset:744
	ds_read_u16 v11, v16 offset:770
	ds_read_u16 v15, v12 offset:2
	s_waitcnt lgkmcnt(0)
	v_add_f16_e32 v18, v11, v15
	v_sub_f16_e32 v11, v15, v11
	s_waitcnt vmcnt(0)
	v_lshrrev_b32_e32 v19, 16, v10
	v_fma_f16 v20, -v4, v19, v17
	v_fma_f16 v21, v18, v19, -v11
	v_fma_f16 v15, v4, v19, v17
	v_fma_f16 v17, v18, v19, v11
	v_fmac_f16_e32 v20, v10, v18
	v_fmac_f16_e32 v21, v4, v10
	v_fma_f16 v15, -v10, v18, v15
	v_fmac_f16_e32 v17, v4, v10
	v_pack_b32_f16 v11, v20, v21
	ds_write_b32 v16, v11 offset:768
.LBB0_17:
	s_andn2_saveexec_b32 s0, s1
	s_cbranch_execz .LBB0_19
; %bb.18:
	ds_read_b32 v4, v0 offset:384
	s_waitcnt lgkmcnt(0)
	v_pk_mul_f16 v4, 0xc0004000, v4
	ds_write_b32 v0, v4 offset:384
.LBB0_19:
	s_or_b32 exec_lo, exec_lo, s0
	v_mov_b32_e32 v4, 0
	s_add_u32 s0, s12, 0x2e8
	s_addc_u32 s1, s13, 0
	v_perm_b32 v15, v17, v15, 0x5040100
	v_or_b32_e32 v28, 32, v3
	v_lshlrev_b64 v[10:11], 2, v[3:4]
	v_add3_u32 v14, 0, v14, v13
	v_mad_u32_u24 v36, v3, 20, v14
	v_add_co_u32 v18, s0, s0, v10
	v_add_co_ci_u32_e64 v19, s0, s1, v11, s0
	s_clause 0x4
	global_load_dword v20, v[18:19], off offset:64
	global_load_dword v21, v[18:19], off offset:128
	;; [unrolled: 1-line block ×5, first 2 shown]
	ds_write_b32 v12, v15
	ds_read_b32 v15, v12 offset:64
	ds_read_b32 v17, v16 offset:704
	s_waitcnt lgkmcnt(0)
	v_add_f16_e32 v19, v15, v17
	v_add_f16_sdwa v24, v17, v15 dst_sel:DWORD dst_unused:UNUSED_PAD src0_sel:WORD_1 src1_sel:WORD_1
	v_sub_f16_e32 v25, v15, v17
	v_sub_f16_sdwa v15, v15, v17 dst_sel:DWORD dst_unused:UNUSED_PAD src0_sel:WORD_1 src1_sel:WORD_1
	s_waitcnt vmcnt(4)
	v_lshrrev_b32_e32 v26, 16, v20
	v_fma_f16 v17, v25, v26, v19
	v_fma_f16 v27, v24, v26, v15
	v_fma_f16 v19, -v25, v26, v19
	v_fma_f16 v15, v24, v26, -v15
	v_fma_f16 v17, -v20, v24, v17
	v_fmac_f16_e32 v27, v25, v20
	v_fmac_f16_e32 v19, v20, v24
	;; [unrolled: 1-line block ×3, first 2 shown]
	v_pack_b32_f16 v17, v17, v27
	v_pack_b32_f16 v15, v19, v15
	ds_write_b32 v12, v17 offset:64
	ds_write_b32 v16, v15 offset:704
	ds_read_b32 v15, v12 offset:128
	ds_read_b32 v17, v16 offset:640
	s_waitcnt vmcnt(3)
	v_lshrrev_b32_e32 v19, 16, v21
	s_waitcnt lgkmcnt(0)
	v_add_f16_e32 v20, v15, v17
	v_add_f16_sdwa v24, v17, v15 dst_sel:DWORD dst_unused:UNUSED_PAD src0_sel:WORD_1 src1_sel:WORD_1
	v_sub_f16_e32 v25, v15, v17
	v_sub_f16_sdwa v15, v15, v17 dst_sel:DWORD dst_unused:UNUSED_PAD src0_sel:WORD_1 src1_sel:WORD_1
	v_fma_f16 v17, v25, v19, v20
	v_fma_f16 v26, v24, v19, v15
	v_fma_f16 v20, -v25, v19, v20
	v_fma_f16 v15, v24, v19, -v15
	s_waitcnt vmcnt(2)
	v_lshrrev_b32_e32 v19, 16, v22
	v_fma_f16 v17, -v21, v24, v17
	v_fmac_f16_e32 v26, v25, v21
	v_fmac_f16_e32 v20, v21, v24
	;; [unrolled: 1-line block ×3, first 2 shown]
	v_pack_b32_f16 v17, v17, v26
	v_pack_b32_f16 v15, v20, v15
	ds_write_b32 v12, v17 offset:128
	ds_write_b32 v16, v15 offset:640
	ds_read_b32 v15, v12 offset:192
	ds_read_b32 v17, v16 offset:576
	s_waitcnt lgkmcnt(0)
	v_add_f16_e32 v20, v15, v17
	v_add_f16_sdwa v21, v17, v15 dst_sel:DWORD dst_unused:UNUSED_PAD src0_sel:WORD_1 src1_sel:WORD_1
	v_sub_f16_e32 v24, v15, v17
	v_sub_f16_sdwa v15, v15, v17 dst_sel:DWORD dst_unused:UNUSED_PAD src0_sel:WORD_1 src1_sel:WORD_1
	v_fma_f16 v17, v24, v19, v20
	v_fma_f16 v25, v21, v19, v15
	v_fma_f16 v20, -v24, v19, v20
	v_fma_f16 v15, v21, v19, -v15
	s_waitcnt vmcnt(1)
	v_lshrrev_b32_e32 v19, 16, v23
	v_fma_f16 v17, -v22, v21, v17
	v_fmac_f16_e32 v25, v24, v22
	v_fmac_f16_e32 v20, v22, v21
	;; [unrolled: 1-line block ×3, first 2 shown]
	v_pack_b32_f16 v17, v17, v25
	v_pack_b32_f16 v15, v20, v15
	ds_write_b32 v12, v17 offset:192
	ds_write_b32 v16, v15 offset:576
	ds_read_b32 v15, v12 offset:256
	ds_read_b32 v17, v16 offset:512
	s_waitcnt lgkmcnt(0)
	v_add_f16_e32 v20, v15, v17
	v_add_f16_sdwa v21, v17, v15 dst_sel:DWORD dst_unused:UNUSED_PAD src0_sel:WORD_1 src1_sel:WORD_1
	v_sub_f16_e32 v22, v15, v17
	v_sub_f16_sdwa v15, v15, v17 dst_sel:DWORD dst_unused:UNUSED_PAD src0_sel:WORD_1 src1_sel:WORD_1
	v_fma_f16 v17, v22, v19, v20
	v_fma_f16 v24, v21, v19, v15
	v_fma_f16 v20, -v22, v19, v20
	v_fma_f16 v15, v21, v19, -v15
	v_fma_f16 v17, -v23, v21, v17
	v_fmac_f16_e32 v24, v22, v23
	v_fmac_f16_e32 v20, v23, v21
	;; [unrolled: 1-line block ×3, first 2 shown]
	s_waitcnt vmcnt(0)
	v_lshrrev_b32_e32 v21, 16, v18
	v_pack_b32_f16 v17, v17, v24
	v_pack_b32_f16 v15, v20, v15
	ds_write_b32 v12, v17 offset:256
	ds_write_b32 v16, v15 offset:512
	ds_read_b32 v17, v12 offset:320
	ds_read_b32 v19, v16 offset:448
	v_and_b32_e32 v20, 0xff, v3
	v_or_b32_e32 v15, 16, v3
	v_cmp_gt_u32_e64 s0, 24, v15
	s_waitcnt lgkmcnt(0)
	v_add_f16_e32 v22, v17, v19
	v_add_f16_sdwa v23, v19, v17 dst_sel:DWORD dst_unused:UNUSED_PAD src0_sel:WORD_1 src1_sel:WORD_1
	v_sub_f16_e32 v24, v17, v19
	v_sub_f16_sdwa v17, v17, v19 dst_sel:DWORD dst_unused:UNUSED_PAD src0_sel:WORD_1 src1_sel:WORD_1
	v_mul_lo_u16 v19, 0xab, v20
	v_fma_f16 v20, v24, v21, v22
	v_fma_f16 v25, v23, v21, v17
	v_fma_f16 v22, -v24, v21, v22
	v_fma_f16 v17, v23, v21, -v17
	v_and_b32_e32 v21, 0xff, v15
	v_fma_f16 v20, -v18, v23, v20
	v_fmac_f16_e32 v25, v24, v18
	v_lshrrev_b16 v29, 10, v19
	v_fmac_f16_e32 v22, v18, v23
	v_fmac_f16_e32 v17, v24, v18
	v_and_b32_e32 v18, 0xff, v28
	v_mul_lo_u16 v19, 0xab, v21
	v_pack_b32_f16 v20, v20, v25
	v_mul_lo_u16 v26, v29, 6
	v_pack_b32_f16 v17, v22, v17
	v_mul_lo_u16 v30, 0xab, v18
	v_lshrrev_b16 v31, 10, v19
	ds_write_b32 v12, v20 offset:320
	ds_write_b32 v16, v17 offset:448
	s_waitcnt lgkmcnt(0)
	s_barrier
	buffer_gl0_inv
	s_barrier
	buffer_gl0_inv
	ds_read2_b32 v[18:19], v14 offset0:16 offset1:32
	ds_read2_b32 v[20:21], v14 offset0:48 offset1:64
	ds_read_b32 v16, v12
	ds_read2_b32 v[22:23], v14 offset0:80 offset1:96
	ds_read2_b32 v[24:25], v14 offset0:112 offset1:128
	v_sub_nc_u16 v32, v3, v26
	ds_read2_b32 v[26:27], v14 offset0:144 offset1:160
	ds_read_b32 v35, v14 offset:704
	v_mul_lo_u16 v33, v31, 6
	v_lshrrev_b16 v30, 10, v30
	v_mov_b32_e32 v17, 2
	v_mul_lo_u16 v34, v32, 3
	s_waitcnt lgkmcnt(0)
	v_sub_nc_u16 v33, v15, v33
	v_mul_lo_u16 v37, v30, 6
	s_barrier
	buffer_gl0_inv
	v_lshlrev_b32_sdwa v34, v17, v34 dst_sel:DWORD dst_unused:UNUSED_PAD src0_sel:DWORD src1_sel:BYTE_0
	v_mul_lo_u16 v38, v33, 3
	v_pk_add_f16 v39, v16, v21
	v_pk_add_f16 v40, v19, v23
	;; [unrolled: 1-line block ×3, first 2 shown]
	v_pk_add_f16 v21, v21, v25 neg_lo:[0,1] neg_hi:[0,1]
	v_pk_add_f16 v42, v23, v27
	v_pk_add_f16 v45, v22, v26
	;; [unrolled: 1-line block ×3, first 2 shown]
	v_pk_add_f16 v23, v23, v27 neg_lo:[0,1] neg_hi:[0,1]
	v_pk_add_f16 v43, v18, v22
	v_pk_add_f16 v44, v20, v24
	v_pk_fma_f16 v16, v41, 0.5, v16 op_sel_hi:[1,0,1] neg_lo:[1,0,0] neg_hi:[1,0,0]
	v_pk_fma_f16 v19, v42, 0.5, v19 op_sel_hi:[1,0,1] neg_lo:[1,0,0] neg_hi:[1,0,0]
	v_pk_add_f16 v22, v22, v26 neg_lo:[0,1] neg_hi:[0,1]
	v_pk_add_f16 v24, v24, v35 neg_lo:[0,1] neg_hi:[0,1]
	v_pk_add_f16 v25, v39, v25
	v_pk_add_f16 v27, v40, v27
	v_pk_fma_f16 v18, v45, 0.5, v18 op_sel_hi:[1,0,1] neg_lo:[1,0,0] neg_hi:[1,0,0]
	v_pk_fma_f16 v20, v46, 0.5, v20 op_sel_hi:[1,0,1] neg_lo:[1,0,0] neg_hi:[1,0,0]
	v_pk_add_f16 v26, v43, v26
	v_pk_add_f16 v35, v44, v35
	v_pk_fma_f16 v40, 0x3aee, v21, v16 op_sel:[0,0,1] op_sel_hi:[0,1,0] neg_lo:[0,1,0] neg_hi:[0,1,0]
	v_pk_fma_f16 v16, 0x3aee, v21, v16 op_sel:[0,0,1] op_sel_hi:[0,1,0]
	v_pk_fma_f16 v21, 0x3aee, v23, v19 op_sel:[0,0,1] op_sel_hi:[0,1,0]
	v_pk_fma_f16 v19, 0x3aee, v23, v19 op_sel:[0,0,1] op_sel_hi:[0,1,0] neg_lo:[0,1,0] neg_hi:[0,1,0]
	v_pk_add_f16 v39, v25, v27
	v_pk_add_f16 v23, v25, v27 neg_lo:[0,1] neg_hi:[0,1]
	v_pk_fma_f16 v27, 0x3aee, v22, v18 op_sel:[0,0,1] op_sel_hi:[0,1,0] neg_lo:[0,1,0] neg_hi:[0,1,0]
	v_pk_fma_f16 v18, 0x3aee, v22, v18 op_sel:[0,0,1] op_sel_hi:[0,1,0]
	v_pk_fma_f16 v22, 0x3aee, v24, v20 op_sel:[0,0,1] op_sel_hi:[0,1,0]
	v_pk_fma_f16 v20, 0x3aee, v24, v20 op_sel:[0,0,1] op_sel_hi:[0,1,0] neg_lo:[0,1,0] neg_hi:[0,1,0]
	v_pk_add_f16 v25, v26, v35
	v_pk_add_f16 v24, v26, v35 neg_lo:[0,1] neg_hi:[0,1]
	v_lshrrev_b32_e32 v26, 16, v19
	v_mul_f16_e32 v35, 0x3aee, v21
	v_pk_mul_f16 v41, 0x3aee, v19 op_sel_hi:[0,1]
	v_lshrrev_b32_e32 v42, 16, v21
	v_mul_f16_e32 v19, -0.5, v19
	v_pk_mul_f16 v47, 0x3aee, v20 op_sel_hi:[0,1]
	v_lshrrev_b32_e32 v45, 16, v20
	v_mul_f16_e32 v46, 0x3aee, v22
	v_lshrrev_b32_e32 v48, 16, v22
	v_mul_f16_e32 v20, -0.5, v20
	v_fma_f16 v26, v26, 0.5, -v35
	v_pk_fma_f16 v35, 0xb8003800, v21, v41 op_sel:[0,0,1] op_sel_hi:[1,1,0]
	v_pk_fma_f16 v21, 0xb8003800, v21, v41 op_sel:[0,0,1] op_sel_hi:[1,1,0] neg_lo:[0,0,1] neg_hi:[0,0,1]
	v_fmac_f16_e32 v19, 0x3aee, v42
	v_pk_fma_f16 v42, 0xb8003800, v22, v47 op_sel:[0,0,1] op_sel_hi:[1,1,0]
	v_pk_fma_f16 v22, 0xb8003800, v22, v47 op_sel:[0,0,1] op_sel_hi:[1,1,0] neg_lo:[0,0,1] neg_hi:[0,0,1]
	v_fma_f16 v41, v45, 0.5, -v46
	v_fmac_f16_e32 v20, 0x3aee, v48
	v_bfi_b32 v46, 0xffff, v35, v21
	v_alignbit_b32 v43, v16, v40, 16
	v_add_f16_sdwa v45, v40, v26 dst_sel:DWORD dst_unused:UNUSED_PAD src0_sel:WORD_1 src1_sel:DWORD
	v_pack_b32_f16 v26, v26, v35
	v_bfi_b32 v35, 0xffff, v42, v22
	v_alignbit_b32 v44, v40, v16, 16
	v_add_f16_e32 v40, v40, v19
	v_alignbit_b32 v19, v19, v21, 16
	v_alignbit_b32 v49, v18, v27, 16
	v_add_f16_sdwa v21, v27, v41 dst_sel:DWORD dst_unused:UNUSED_PAD src0_sel:WORD_1 src1_sel:DWORD
	v_pack_b32_f16 v41, v41, v42
	v_alignbit_b32 v50, v27, v18, 16
	v_add_f16_e32 v27, v27, v20
	v_alignbit_b32 v20, v20, v22, 16
	v_pk_add_f16 v16, v16, v46
	v_pk_add_f16 v22, v43, v26 neg_lo:[0,1] neg_hi:[0,1]
	v_pk_add_f16 v18, v18, v35
	v_pk_add_f16 v19, v44, v19 neg_lo:[0,1] neg_hi:[0,1]
	v_pk_add_f16 v26, v49, v41 neg_lo:[0,1] neg_hi:[0,1]
	v_pk_add_f16 v20, v50, v20 neg_lo:[0,1] neg_hi:[0,1]
	v_alignbit_b32 v35, v40, v16, 16
	v_pack_b32_f16 v16, v45, v16
	ds_write2_b32 v36, v23, v22 offset0:3 offset1:4
	v_alignbit_b32 v22, v27, v18, 16
	v_pack_b32_f16 v18, v21, v18
	ds_write2_b32 v36, v39, v19 offset1:5
	ds_write2_b32 v36, v24, v26 offset0:99 offset1:100
	ds_write2_b32 v36, v25, v20 offset0:96 offset1:101
	;; [unrolled: 1-line block ×4, first 2 shown]
	v_lshlrev_b32_sdwa v16, v17, v38 dst_sel:DWORD dst_unused:UNUSED_PAD src0_sel:DWORD src1_sel:BYTE_0
	v_sub_nc_u16 v35, v28, v37
	s_waitcnt lgkmcnt(0)
	s_barrier
	buffer_gl0_inv
	s_clause 0x1
	global_load_dwordx3 v[18:20], v34, s[12:13]
	global_load_dwordx3 v[21:23], v16, s[12:13]
	v_mul_lo_u16 v16, v35, 3
	v_mul_lo_u16 v27, v29, 24
	;; [unrolled: 1-line block ×3, first 2 shown]
	v_mul_u32_u24_e32 v37, 3, v3
	v_lshlrev_b32_sdwa v16, v17, v16 dst_sel:DWORD dst_unused:UNUSED_PAD src0_sel:DWORD src1_sel:BYTE_0
	v_or_b32_e32 v38, v27, v32
	v_or_b32_e32 v40, v28, v33
	global_load_dwordx3 v[24:26], v16, s[12:13]
	v_add_nc_u32_e32 v16, -8, v3
	v_lshlrev_b32_sdwa v43, v17, v38 dst_sel:DWORD dst_unused:UNUSED_PAD src0_sel:DWORD src1_sel:BYTE_0
	v_lshlrev_b32_sdwa v40, v17, v40 dst_sel:DWORD dst_unused:UNUSED_PAD src0_sel:DWORD src1_sel:BYTE_0
	v_cndmask_b32_e64 v39, v16, v15, s0
	v_mad_i32_i24 v16, 0xffffffec, v3, v36
	v_mul_lo_u16 v36, v30, 24
	ds_read2_b32 v[27:28], v14 offset0:96 offset1:112
	ds_read2_b32 v[29:30], v14 offset0:160 offset1:176
	ds_read_b32 v41, v16 offset:320
	ds_read2_b32 v[31:32], v14 offset0:128 offset1:144
	ds_read2_b32 v[33:34], v16 offset0:48 offset1:64
	v_mul_i32_i24_e32 v3, 3, v39
	v_add3_u32 v40, 0, v40, v13
	v_or_b32_e32 v42, v36, v35
	ds_read_b32 v44, v12
	ds_read2_b32 v[35:36], v16 offset0:16 offset1:32
	s_waitcnt vmcnt(0) lgkmcnt(0)
	s_barrier
	buffer_gl0_inv
	v_lshlrev_b32_sdwa v17, v17, v42 dst_sel:DWORD dst_unused:UNUSED_PAD src0_sel:DWORD src1_sel:BYTE_0
	v_lshlrev_b32_e32 v42, 2, v37
	v_lshlrev_b64 v[37:38], 2, v[3:4]
	v_add3_u32 v3, 0, v43, v13
	v_add3_u32 v17, 0, v17, v13
	v_lshrrev_b32_e32 v43, 16, v28
	v_lshrrev_b32_e32 v49, 16, v27
	;; [unrolled: 1-line block ×12, first 2 shown]
	v_mul_f16_sdwa v56, v18, v33 dst_sel:DWORD dst_unused:UNUSED_PAD src0_sel:WORD_1 src1_sel:DWORD
	v_mul_f16_sdwa v57, v19, v27 dst_sel:DWORD dst_unused:UNUSED_PAD src0_sel:WORD_1 src1_sel:DWORD
	;; [unrolled: 1-line block ×6, first 2 shown]
	v_mul_f16_sdwa v63, v43, v22 dst_sel:DWORD dst_unused:UNUSED_PAD src0_sel:DWORD src1_sel:WORD_1
	v_mul_f16_sdwa v62, v21, v51 dst_sel:DWORD dst_unused:UNUSED_PAD src0_sel:WORD_1 src1_sel:DWORD
	v_mul_f16_sdwa v64, v21, v34 dst_sel:DWORD dst_unused:UNUSED_PAD src0_sel:WORD_1 src1_sel:DWORD
	v_fma_f16 v48, v18, v48, -v56
	v_mul_f16_sdwa v56, v28, v22 dst_sel:DWORD dst_unused:UNUSED_PAD src0_sel:DWORD src1_sel:WORD_1
	v_fma_f16 v49, v19, v49, -v57
	v_mul_f16_sdwa v57, v29, v23 dst_sel:DWORD dst_unused:UNUSED_PAD src0_sel:DWORD src1_sel:WORD_1
	;; [unrolled: 2-line block ×3, first 2 shown]
	v_fmac_f16_e32 v58, v18, v33
	v_fmac_f16_e32 v60, v19, v27
	;; [unrolled: 1-line block ×3, first 2 shown]
	v_mul_f16_sdwa v18, v46, v24 dst_sel:DWORD dst_unused:UNUSED_PAD src0_sel:DWORD src1_sel:WORD_1
	v_mul_f16_sdwa v19, v41, v24 dst_sel:DWORD dst_unused:UNUSED_PAD src0_sel:DWORD src1_sel:WORD_1
	;; [unrolled: 1-line block ×5, first 2 shown]
	v_fmac_f16_e32 v63, v28, v22
	v_mul_f16_sdwa v28, v30, v26 dst_sel:DWORD dst_unused:UNUSED_PAD src0_sel:DWORD src1_sel:WORD_1
	v_fmac_f16_e32 v62, v21, v34
	v_fma_f16 v21, v21, v51, -v64
	v_fma_f16 v22, v43, v22, -v56
	;; [unrolled: 1-line block ×3, first 2 shown]
	v_fmac_f16_e32 v59, v29, v23
	v_fmac_f16_e32 v18, v41, v24
	v_fma_f16 v19, v46, v24, -v19
	v_fmac_f16_e32 v20, v31, v25
	v_fma_f16 v23, v47, v25, -v27
	;; [unrolled: 2-line block ×3, first 2 shown]
	v_sub_f16_e32 v25, v44, v60
	v_sub_f16_e32 v26, v53, v49
	;; [unrolled: 1-line block ×12, first 2 shown]
	v_fma_f16 v33, v44, 2.0, -v25
	v_fma_f16 v34, v53, 2.0, -v26
	;; [unrolled: 1-line block ×12, first 2 shown]
	v_add_f16_e32 v28, v25, v28
	v_sub_f16_e32 v27, v26, v27
	v_add_f16_e32 v31, v29, v31
	v_sub_f16_e32 v30, v22, v30
	;; [unrolled: 2-line block ×3, first 2 shown]
	v_sub_f16_e32 v41, v33, v41
	v_sub_f16_e32 v43, v34, v43
	;; [unrolled: 1-line block ×6, first 2 shown]
	v_fma_f16 v25, v25, 2.0, -v28
	v_fma_f16 v26, v26, 2.0, -v27
	;; [unrolled: 1-line block ×6, first 2 shown]
	v_pack_b32_f16 v27, v28, v27
	v_pack_b32_f16 v28, v31, v30
	v_fma_f16 v30, v33, 2.0, -v41
	v_fma_f16 v31, v34, 2.0, -v43
	v_pack_b32_f16 v24, v24, v32
	v_fma_f16 v32, v35, 2.0, -v45
	v_fma_f16 v33, v44, 2.0, -v21
	;; [unrolled: 1-line block ×4, first 2 shown]
	v_pack_b32_f16 v25, v25, v26
	v_pack_b32_f16 v26, v41, v43
	;; [unrolled: 1-line block ×9, first 2 shown]
	ds_write2_b32 v3, v26, v27 offset0:12 offset1:18
	ds_write2_b32 v3, v23, v25 offset1:6
	ds_write2_b32 v40, v29, v22 offset1:6
	ds_write2_b32 v40, v21, v28 offset0:12 offset1:18
	ds_write2_b32 v17, v19, v20 offset1:6
	ds_write2_b32 v17, v18, v24 offset0:12 offset1:18
	v_add_co_u32 v20, s0, s12, v37
	v_add_co_ci_u32_e64 v21, s0, s13, v38, s0
	s_waitcnt lgkmcnt(0)
	s_barrier
	buffer_gl0_inv
	s_clause 0x2
	global_load_dwordx3 v[17:19], v42, s[12:13] offset:72
	global_load_dwordx3 v[20:22], v[20:21], off offset:72
	global_load_dwordx3 v[23:25], v42, s[12:13] offset:168
	v_cmp_lt_u32_e64 s0, 23, v15
	ds_read2_b32 v[26:27], v14 offset0:160 offset1:176
	ds_read_b32 v15, v16 offset:320
	ds_read2_b32 v[28:29], v14 offset0:128 offset1:144
	ds_read2_b32 v[30:31], v16 offset0:48 offset1:64
	;; [unrolled: 1-line block ×3, first 2 shown]
	ds_read_b32 v36, v12
	ds_read2_b32 v[34:35], v16 offset0:16 offset1:32
	s_waitcnt vmcnt(0) lgkmcnt(0)
	s_barrier
	v_cndmask_b32_e64 v3, 0, 0x60, s0
	v_add_co_u32 v8, s0, s12, v8
	v_add_co_ci_u32_e64 v9, s0, s13, v9, s0
	v_or_b32_e32 v3, v3, v39
	v_add_co_u32 v10, s0, s12, v10
	v_add_co_ci_u32_e64 v11, s0, s13, v11, s0
	v_lshlrev_b32_e32 v3, 2, v3
	buffer_gl0_inv
	v_lshrrev_b32_e32 v39, 16, v27
	v_lshrrev_b32_e32 v37, 16, v15
	v_lshrrev_b32_e32 v42, 16, v29
	v_lshrrev_b32_e32 v40, 16, v30
	v_lshrrev_b32_e32 v41, 16, v32
	v_add3_u32 v3, 0, v3, v13
	v_lshrrev_b32_e32 v13, 16, v26
	v_lshrrev_b32_e32 v43, 16, v31
	;; [unrolled: 1-line block ×7, first 2 shown]
	v_mul_f16_sdwa v48, v17, v40 dst_sel:DWORD dst_unused:UNUSED_PAD src0_sel:WORD_1 src1_sel:DWORD
	v_mul_f16_sdwa v49, v17, v30 dst_sel:DWORD dst_unused:UNUSED_PAD src0_sel:WORD_1 src1_sel:DWORD
	;; [unrolled: 1-line block ×10, first 2 shown]
	v_mul_f16_sdwa v58, v13, v22 dst_sel:DWORD dst_unused:UNUSED_PAD src0_sel:DWORD src1_sel:WORD_1
	v_mul_f16_sdwa v59, v26, v22 dst_sel:DWORD dst_unused:UNUSED_PAD src0_sel:DWORD src1_sel:WORD_1
	;; [unrolled: 1-line block ×6, first 2 shown]
	v_fma_f16 v40, v17, v40, -v49
	v_fma_f16 v41, v18, v41, -v51
	;; [unrolled: 1-line block ×3, first 2 shown]
	v_fmac_f16_e32 v48, v17, v30
	v_fmac_f16_e32 v50, v18, v32
	;; [unrolled: 1-line block ×3, first 2 shown]
	v_mul_f16_sdwa v64, v39, v25 dst_sel:DWORD dst_unused:UNUSED_PAD src0_sel:DWORD src1_sel:WORD_1
	v_mul_f16_sdwa v49, v27, v25 dst_sel:DWORD dst_unused:UNUSED_PAD src0_sel:DWORD src1_sel:WORD_1
	v_fmac_f16_e32 v54, v20, v31
	v_fma_f16 v17, v20, v43, -v55
	v_fmac_f16_e32 v56, v21, v33
	v_fma_f16 v18, v21, v44, -v57
	;; [unrolled: 2-line block ×5, first 2 shown]
	v_sub_f16_e32 v21, v36, v50
	v_sub_f16_e32 v22, v45, v41
	v_sub_f16_e32 v23, v48, v52
	v_sub_f16_e32 v24, v40, v42
	v_fmac_f16_e32 v64, v27, v25
	v_fma_f16 v20, v39, v25, -v49
	v_sub_f16_e32 v25, v34, v56
	v_sub_f16_e32 v18, v46, v18
	;; [unrolled: 1-line block ×4, first 2 shown]
	v_fma_f16 v29, v36, 2.0, -v21
	v_fma_f16 v30, v45, 2.0, -v22
	;; [unrolled: 1-line block ×4, first 2 shown]
	v_sub_f16_e32 v27, v35, v62
	v_sub_f16_e32 v19, v47, v19
	;; [unrolled: 1-line block ×4, first 2 shown]
	v_fma_f16 v33, v34, 2.0, -v25
	v_fma_f16 v34, v46, 2.0, -v18
	;; [unrolled: 1-line block ×4, first 2 shown]
	v_add_f16_e32 v24, v21, v24
	v_sub_f16_e32 v23, v22, v23
	v_add_f16_e32 v13, v25, v13
	v_sub_f16_e32 v26, v18, v26
	v_sub_f16_e32 v31, v29, v31
	;; [unrolled: 1-line block ×3, first 2 shown]
	v_fma_f16 v38, v60, 2.0, -v28
	v_fma_f16 v15, v15, 2.0, -v20
	v_add_f16_e32 v20, v27, v20
	v_sub_f16_e32 v28, v19, v28
	v_sub_f16_e32 v36, v33, v36
	;; [unrolled: 1-line block ×3, first 2 shown]
	v_fma_f16 v35, v35, 2.0, -v27
	v_fma_f16 v37, v47, 2.0, -v19
	;; [unrolled: 1-line block ×6, first 2 shown]
	v_pack_b32_f16 v23, v24, v23
	v_pack_b32_f16 v13, v13, v26
	v_fma_f16 v24, v29, 2.0, -v31
	v_fma_f16 v26, v30, 2.0, -v32
	;; [unrolled: 1-line block ×4, first 2 shown]
	v_pack_b32_f16 v20, v20, v28
	v_fma_f16 v28, v33, 2.0, -v36
	v_fma_f16 v29, v34, 2.0, -v17
	v_sub_f16_e32 v38, v35, v38
	v_sub_f16_e32 v15, v37, v15
	v_pack_b32_f16 v21, v21, v22
	v_pack_b32_f16 v22, v31, v32
	;; [unrolled: 1-line block ×6, first 2 shown]
	v_fma_f16 v30, v35, 2.0, -v38
	v_fma_f16 v33, v37, 2.0, -v15
	v_pack_b32_f16 v15, v38, v15
	v_pack_b32_f16 v19, v27, v19
	ds_write2_b32 v14, v22, v23 offset0:48 offset1:72
	ds_write2_b32 v14, v24, v21 offset1:24
	ds_write2_b32 v3, v25, v18 offset1:24
	ds_write2_b32 v3, v17, v13 offset0:48 offset1:72
	ds_write_b16 v16, v30 offset:416
	ds_write_b16 v16, v33 offset:418
	ds_write2_b32 v14, v19, v15 offset0:128 offset1:152
	ds_write_b32 v14, v20 offset:704
	s_waitcnt lgkmcnt(0)
	s_barrier
	buffer_gl0_inv
	s_clause 0x5
	global_load_dword v3, v[8:9], off offset:360
	global_load_dword v13, v[10:11], off offset:424
	global_load_dword v15, v[10:11], off offset:488
	global_load_dword v23, v[10:11], off offset:552
	global_load_dword v24, v[10:11], off offset:616
	global_load_dword v25, v[10:11], off offset:680
	ds_read2_b32 v[8:9], v14 offset0:96 offset1:112
	ds_read2_b32 v[10:11], v14 offset0:128 offset1:144
	;; [unrolled: 1-line block ×5, first 2 shown]
	ds_read_b32 v12, v12
	ds_read_b32 v26, v16 offset:320
	s_waitcnt vmcnt(0) lgkmcnt(0)
	s_barrier
	buffer_gl0_inv
	v_pk_mul_f16 v27, v3, v8 op_sel:[0,1]
	v_pk_mul_f16 v28, v13, v9 op_sel:[0,1]
	;; [unrolled: 1-line block ×6, first 2 shown]
	v_pk_fma_f16 v33, v3, v8, v27 op_sel:[0,0,1] op_sel_hi:[1,1,0]
	v_pk_fma_f16 v3, v3, v8, v27 op_sel:[0,0,1] op_sel_hi:[1,0,0] neg_lo:[1,0,0] neg_hi:[1,0,0]
	v_pk_fma_f16 v8, v13, v9, v28 op_sel:[0,0,1] op_sel_hi:[1,1,0]
	v_pk_fma_f16 v9, v13, v9, v28 op_sel:[0,0,1] op_sel_hi:[1,0,0] neg_lo:[1,0,0] neg_hi:[1,0,0]
	;; [unrolled: 2-line block ×6, first 2 shown]
	v_bfi_b32 v3, 0xffff, v33, v3
	v_bfi_b32 v8, 0xffff, v8, v9
	;; [unrolled: 1-line block ×6, first 2 shown]
	v_pk_add_f16 v3, v12, v3 neg_lo:[0,1] neg_hi:[0,1]
	v_pk_add_f16 v8, v19, v8 neg_lo:[0,1] neg_hi:[0,1]
	;; [unrolled: 1-line block ×6, first 2 shown]
	v_pk_fma_f16 v12, v12, 2.0, v3 op_sel_hi:[1,0,1] neg_lo:[0,0,1] neg_hi:[0,0,1]
	v_pk_fma_f16 v15, v19, 2.0, v8 op_sel_hi:[1,0,1] neg_lo:[0,0,1] neg_hi:[0,0,1]
	;; [unrolled: 1-line block ×6, first 2 shown]
	ds_write2_b32 v14, v12, v3 offset1:96
	ds_write2_b32 v16, v15, v17 offset0:16 offset1:32
	ds_write2_b32 v16, v9, v10 offset0:128 offset1:144
	;; [unrolled: 1-line block ×5, first 2 shown]
	s_waitcnt lgkmcnt(0)
	s_barrier
	buffer_gl0_inv
	s_and_saveexec_b32 s0, vcc_lo
	s_cbranch_execz .LBB0_21
; %bb.20:
	v_mul_lo_u32 v3, s3, v5
	v_mul_lo_u32 v8, s2, v6
	v_mad_u64_u32 v[5:6], null, s2, v5, 0
	v_lshl_add_u32 v20, v7, 2, v0
	v_lshlrev_b64 v[0:1], 2, v[1:2]
	ds_read2_b32 v[9:10], v20 offset1:16
	v_add3_u32 v6, v6, v8, v3
	v_mov_b32_e32 v8, v4
	v_add_nc_u32_e32 v3, 16, v7
	v_lshlrev_b64 v[5:6], 2, v[5:6]
	v_lshlrev_b64 v[11:12], 2, v[7:8]
	v_lshlrev_b64 v[13:14], 2, v[3:4]
	v_add_nc_u32_e32 v3, 32, v7
	v_add_co_u32 v2, vcc_lo, s10, v5
	v_add_co_ci_u32_e32 v8, vcc_lo, s11, v6, vcc_lo
	ds_read2_b32 v[5:6], v20 offset0:32 offset1:48
	v_add_co_u32 v21, vcc_lo, v2, v0
	v_add_co_ci_u32_e32 v22, vcc_lo, v8, v1, vcc_lo
	v_lshlrev_b64 v[0:1], 2, v[3:4]
	v_add_co_u32 v11, vcc_lo, v21, v11
	v_add_nc_u32_e32 v3, 48, v7
	v_add_co_ci_u32_e32 v12, vcc_lo, v22, v12, vcc_lo
	v_add_co_u32 v13, vcc_lo, v21, v13
	v_add_co_ci_u32_e32 v14, vcc_lo, v22, v14, vcc_lo
	v_add_co_u32 v0, vcc_lo, v21, v0
	v_lshlrev_b64 v[15:16], 2, v[3:4]
	v_add_nc_u32_e32 v3, 64, v7
	v_add_co_ci_u32_e32 v1, vcc_lo, v22, v1, vcc_lo
	s_waitcnt lgkmcnt(1)
	global_store_dword v[11:12], v9, off
	global_store_dword v[13:14], v10, off
	s_waitcnt lgkmcnt(0)
	global_store_dword v[0:1], v5, off
	v_lshlrev_b64 v[0:1], 2, v[3:4]
	v_add_nc_u32_e32 v3, 0x50, v7
	ds_read2_b32 v[10:11], v20 offset0:64 offset1:80
	v_add_co_u32 v8, vcc_lo, v21, v15
	ds_read2_b32 v[14:15], v20 offset0:96 offset1:112
	v_lshlrev_b64 v[12:13], 2, v[3:4]
	v_add_nc_u32_e32 v3, 0x60, v7
	v_add_co_ci_u32_e32 v9, vcc_lo, v22, v16, vcc_lo
	v_add_co_u32 v0, vcc_lo, v21, v0
	v_lshlrev_b64 v[16:17], 2, v[3:4]
	v_add_nc_u32_e32 v3, 0x70, v7
	v_add_co_ci_u32_e32 v1, vcc_lo, v22, v1, vcc_lo
	v_add_co_u32 v12, vcc_lo, v21, v12
	v_add_co_ci_u32_e32 v13, vcc_lo, v22, v13, vcc_lo
	v_lshlrev_b64 v[18:19], 2, v[3:4]
	v_add_nc_u32_e32 v3, 0x80, v7
	v_add_co_u32 v16, vcc_lo, v21, v16
	v_add_co_ci_u32_e32 v17, vcc_lo, v22, v17, vcc_lo
	global_store_dword v[8:9], v6, off
	s_waitcnt lgkmcnt(1)
	global_store_dword v[0:1], v10, off
	global_store_dword v[12:13], v11, off
	s_waitcnt lgkmcnt(0)
	global_store_dword v[16:17], v14, off
	v_lshlrev_b64 v[0:1], 2, v[3:4]
	v_add_nc_u32_e32 v3, 0x90, v7
	ds_read2_b32 v[8:9], v20 offset0:128 offset1:144
	ds_read2_b32 v[12:13], v20 offset0:160 offset1:176
	v_add_co_u32 v5, vcc_lo, v21, v18
	v_lshlrev_b64 v[10:11], 2, v[3:4]
	v_add_nc_u32_e32 v3, 0xa0, v7
	v_add_co_ci_u32_e32 v6, vcc_lo, v22, v19, vcc_lo
	v_add_co_u32 v0, vcc_lo, v21, v0
	v_lshlrev_b64 v[16:17], 2, v[3:4]
	v_add_nc_u32_e32 v3, 0xb0, v7
	v_add_co_ci_u32_e32 v1, vcc_lo, v22, v1, vcc_lo
	v_add_co_u32 v10, vcc_lo, v21, v10
	v_lshlrev_b64 v[2:3], 2, v[3:4]
	v_add_co_ci_u32_e32 v11, vcc_lo, v22, v11, vcc_lo
	v_add_co_u32 v16, vcc_lo, v21, v16
	v_add_co_ci_u32_e32 v17, vcc_lo, v22, v17, vcc_lo
	v_add_co_u32 v2, vcc_lo, v21, v2
	v_add_co_ci_u32_e32 v3, vcc_lo, v22, v3, vcc_lo
	global_store_dword v[5:6], v15, off
	s_waitcnt lgkmcnt(1)
	global_store_dword v[0:1], v8, off
	global_store_dword v[10:11], v9, off
	s_waitcnt lgkmcnt(0)
	global_store_dword v[16:17], v12, off
	global_store_dword v[2:3], v13, off
.LBB0_21:
	s_endpgm
	.section	.rodata,"a",@progbits
	.p2align	6, 0x0
	.amdhsa_kernel fft_rtc_back_len192_factors_6_4_4_2_wgs_128_tpt_16_halfLds_half_op_CI_CI_unitstride_sbrr_C2R_dirReg
		.amdhsa_group_segment_fixed_size 0
		.amdhsa_private_segment_fixed_size 0
		.amdhsa_kernarg_size 104
		.amdhsa_user_sgpr_count 6
		.amdhsa_user_sgpr_private_segment_buffer 1
		.amdhsa_user_sgpr_dispatch_ptr 0
		.amdhsa_user_sgpr_queue_ptr 0
		.amdhsa_user_sgpr_kernarg_segment_ptr 1
		.amdhsa_user_sgpr_dispatch_id 0
		.amdhsa_user_sgpr_flat_scratch_init 0
		.amdhsa_user_sgpr_private_segment_size 0
		.amdhsa_wavefront_size32 1
		.amdhsa_uses_dynamic_stack 0
		.amdhsa_system_sgpr_private_segment_wavefront_offset 0
		.amdhsa_system_sgpr_workgroup_id_x 1
		.amdhsa_system_sgpr_workgroup_id_y 0
		.amdhsa_system_sgpr_workgroup_id_z 0
		.amdhsa_system_sgpr_workgroup_info 0
		.amdhsa_system_vgpr_workitem_id 0
		.amdhsa_next_free_vgpr 65
		.amdhsa_next_free_sgpr 27
		.amdhsa_reserve_vcc 1
		.amdhsa_reserve_flat_scratch 0
		.amdhsa_float_round_mode_32 0
		.amdhsa_float_round_mode_16_64 0
		.amdhsa_float_denorm_mode_32 3
		.amdhsa_float_denorm_mode_16_64 3
		.amdhsa_dx10_clamp 1
		.amdhsa_ieee_mode 1
		.amdhsa_fp16_overflow 0
		.amdhsa_workgroup_processor_mode 1
		.amdhsa_memory_ordered 1
		.amdhsa_forward_progress 0
		.amdhsa_shared_vgpr_count 0
		.amdhsa_exception_fp_ieee_invalid_op 0
		.amdhsa_exception_fp_denorm_src 0
		.amdhsa_exception_fp_ieee_div_zero 0
		.amdhsa_exception_fp_ieee_overflow 0
		.amdhsa_exception_fp_ieee_underflow 0
		.amdhsa_exception_fp_ieee_inexact 0
		.amdhsa_exception_int_div_zero 0
	.end_amdhsa_kernel
	.text
.Lfunc_end0:
	.size	fft_rtc_back_len192_factors_6_4_4_2_wgs_128_tpt_16_halfLds_half_op_CI_CI_unitstride_sbrr_C2R_dirReg, .Lfunc_end0-fft_rtc_back_len192_factors_6_4_4_2_wgs_128_tpt_16_halfLds_half_op_CI_CI_unitstride_sbrr_C2R_dirReg
                                        ; -- End function
	.section	.AMDGPU.csdata,"",@progbits
; Kernel info:
; codeLenInByte = 6620
; NumSgprs: 29
; NumVgprs: 65
; ScratchSize: 0
; MemoryBound: 0
; FloatMode: 240
; IeeeMode: 1
; LDSByteSize: 0 bytes/workgroup (compile time only)
; SGPRBlocks: 3
; VGPRBlocks: 8
; NumSGPRsForWavesPerEU: 29
; NumVGPRsForWavesPerEU: 65
; Occupancy: 12
; WaveLimiterHint : 1
; COMPUTE_PGM_RSRC2:SCRATCH_EN: 0
; COMPUTE_PGM_RSRC2:USER_SGPR: 6
; COMPUTE_PGM_RSRC2:TRAP_HANDLER: 0
; COMPUTE_PGM_RSRC2:TGID_X_EN: 1
; COMPUTE_PGM_RSRC2:TGID_Y_EN: 0
; COMPUTE_PGM_RSRC2:TGID_Z_EN: 0
; COMPUTE_PGM_RSRC2:TIDIG_COMP_CNT: 0
	.text
	.p2alignl 6, 3214868480
	.fill 48, 4, 3214868480
	.type	__hip_cuid_a1a5ba955a0ec7f7,@object ; @__hip_cuid_a1a5ba955a0ec7f7
	.section	.bss,"aw",@nobits
	.globl	__hip_cuid_a1a5ba955a0ec7f7
__hip_cuid_a1a5ba955a0ec7f7:
	.byte	0                               ; 0x0
	.size	__hip_cuid_a1a5ba955a0ec7f7, 1

	.ident	"AMD clang version 19.0.0git (https://github.com/RadeonOpenCompute/llvm-project roc-6.4.0 25133 c7fe45cf4b819c5991fe208aaa96edf142730f1d)"
	.section	".note.GNU-stack","",@progbits
	.addrsig
	.addrsig_sym __hip_cuid_a1a5ba955a0ec7f7
	.amdgpu_metadata
---
amdhsa.kernels:
  - .args:
      - .actual_access:  read_only
        .address_space:  global
        .offset:         0
        .size:           8
        .value_kind:     global_buffer
      - .offset:         8
        .size:           8
        .value_kind:     by_value
      - .actual_access:  read_only
        .address_space:  global
        .offset:         16
        .size:           8
        .value_kind:     global_buffer
      - .actual_access:  read_only
        .address_space:  global
        .offset:         24
        .size:           8
        .value_kind:     global_buffer
      - .actual_access:  read_only
        .address_space:  global
        .offset:         32
        .size:           8
        .value_kind:     global_buffer
      - .offset:         40
        .size:           8
        .value_kind:     by_value
      - .actual_access:  read_only
        .address_space:  global
        .offset:         48
        .size:           8
        .value_kind:     global_buffer
      - .actual_access:  read_only
        .address_space:  global
        .offset:         56
        .size:           8
        .value_kind:     global_buffer
      - .offset:         64
        .size:           4
        .value_kind:     by_value
      - .actual_access:  read_only
        .address_space:  global
        .offset:         72
        .size:           8
        .value_kind:     global_buffer
      - .actual_access:  read_only
        .address_space:  global
        .offset:         80
        .size:           8
        .value_kind:     global_buffer
      - .actual_access:  read_only
        .address_space:  global
        .offset:         88
        .size:           8
        .value_kind:     global_buffer
      - .actual_access:  write_only
        .address_space:  global
        .offset:         96
        .size:           8
        .value_kind:     global_buffer
    .group_segment_fixed_size: 0
    .kernarg_segment_align: 8
    .kernarg_segment_size: 104
    .language:       OpenCL C
    .language_version:
      - 2
      - 0
    .max_flat_workgroup_size: 128
    .name:           fft_rtc_back_len192_factors_6_4_4_2_wgs_128_tpt_16_halfLds_half_op_CI_CI_unitstride_sbrr_C2R_dirReg
    .private_segment_fixed_size: 0
    .sgpr_count:     29
    .sgpr_spill_count: 0
    .symbol:         fft_rtc_back_len192_factors_6_4_4_2_wgs_128_tpt_16_halfLds_half_op_CI_CI_unitstride_sbrr_C2R_dirReg.kd
    .uniform_work_group_size: 1
    .uses_dynamic_stack: false
    .vgpr_count:     65
    .vgpr_spill_count: 0
    .wavefront_size: 32
    .workgroup_processor_mode: 1
amdhsa.target:   amdgcn-amd-amdhsa--gfx1030
amdhsa.version:
  - 1
  - 2
...

	.end_amdgpu_metadata
